;; amdgpu-corpus repo=ROCm/rocFFT kind=compiled arch=gfx950 opt=O3
	.text
	.amdgcn_target "amdgcn-amd-amdhsa--gfx950"
	.amdhsa_code_object_version 6
	.protected	fft_rtc_fwd_len192_factors_4_4_3_4_wgs_256_tpt_16_halfLds_dim2_sp_ip_CI_sbcc_twdbase8_2step_dirReg_intrinsicReadWrite ; -- Begin function fft_rtc_fwd_len192_factors_4_4_3_4_wgs_256_tpt_16_halfLds_dim2_sp_ip_CI_sbcc_twdbase8_2step_dirReg_intrinsicReadWrite
	.globl	fft_rtc_fwd_len192_factors_4_4_3_4_wgs_256_tpt_16_halfLds_dim2_sp_ip_CI_sbcc_twdbase8_2step_dirReg_intrinsicReadWrite
	.p2align	8
	.type	fft_rtc_fwd_len192_factors_4_4_3_4_wgs_256_tpt_16_halfLds_dim2_sp_ip_CI_sbcc_twdbase8_2step_dirReg_intrinsicReadWrite,@function
fft_rtc_fwd_len192_factors_4_4_3_4_wgs_256_tpt_16_halfLds_dim2_sp_ip_CI_sbcc_twdbase8_2step_dirReg_intrinsicReadWrite: ; @fft_rtc_fwd_len192_factors_4_4_3_4_wgs_256_tpt_16_halfLds_dim2_sp_ip_CI_sbcc_twdbase8_2step_dirReg_intrinsicReadWrite
; %bb.0:
	s_load_dwordx4 s[4:7], s[0:1], 0x10
	s_mov_b32 s3, 0
	s_mov_b64 s[14:15], 0
	s_waitcnt lgkmcnt(0)
	s_load_dwordx2 s[10:11], s[4:5], 0x8
	s_load_dwordx2 s[8:9], s[0:1], 0x50
	s_nop 0
	s_load_dwordx2 s[4:5], s[6:7], 0x0
	s_waitcnt lgkmcnt(0)
	s_add_u32 s12, s10, -1
	s_addc_u32 s13, s11, -1
	s_lshr_b64 s[12:13], s[12:13], 4
	s_add_u32 s12, s12, 1
	s_addc_u32 s13, s13, 0
	v_mov_b64_e32 v[2:3], s[12:13]
	v_cmp_lt_u64_e32 vcc, s[2:3], v[2:3]
	s_cbranch_vccnz .LBB0_2
; %bb.1:
	v_cvt_f32_u32_e32 v1, s12
	s_sub_i32 s3, 0, s12
	v_rcp_iflag_f32_e32 v1, v1
	s_nop 0
	v_mul_f32_e32 v1, 0x4f7ffffe, v1
	v_cvt_u32_f32_e32 v1, v1
	s_nop 0
	v_readfirstlane_b32 s5, v1
	s_mul_i32 s3, s3, s5
	s_mul_hi_u32 s3, s5, s3
	s_add_i32 s5, s5, s3
	s_mul_hi_u32 s3, s2, s5
	s_mul_i32 s14, s3, s12
	s_sub_i32 s14, s2, s14
	s_add_i32 s5, s3, 1
	s_sub_i32 s15, s14, s12
	s_cmp_ge_u32 s14, s12
	s_cselect_b32 s3, s5, s3
	s_cselect_b32 s14, s15, s14
	s_add_i32 s5, s3, 1
	s_cmp_ge_u32 s14, s12
	s_cselect_b32 s14, s5, s3
.LBB0_2:
	s_mul_i32 s3, s14, s13
	s_mul_hi_u32 s5, s14, s12
	s_load_dwordx4 s[16:19], s[6:7], 0x8
	s_add_i32 s5, s5, s3
	s_mul_i32 s3, s14, s12
	s_sub_u32 s2, s2, s3
	s_subb_u32 s3, 0, s5
	s_lshl_b64 s[6:7], s[2:3], 4
	v_mov_b32_e32 v1, s2
	v_alignbit_b32 v1, s3, v1, 28
	s_waitcnt lgkmcnt(0)
	s_mul_i32 s2, s6, s17
	s_mul_hi_u32 s3, s6, s16
	v_mul_lo_u32 v1, v1, s16
	s_add_i32 s3, s3, s2
	s_mul_i32 s2, s6, s16
	v_add_u32_e32 v3, s3, v1
	v_mov_b32_e32 v2, s2
	s_mul_i32 s2, s19, s14
	s_mul_hi_u32 s3, s18, s14
	s_add_i32 s3, s3, s2
	s_mul_i32 s2, s18, s14
	v_lshl_add_u64 v[2:3], s[2:3], 0, v[2:3]
	s_add_u32 s2, s6, 16
	v_and_b32_e32 v33, 15, v0
	s_addc_u32 s3, s7, 0
	v_mov_b64_e32 v[4:5], s[10:11]
	v_or_b32_e32 v6, s6, v33
	v_mov_b32_e32 v7, s7
	v_cmp_le_u64_e32 vcc, s[2:3], v[4:5]
	v_mad_u64_u32 v[4:5], s[2:3], s16, v33, 0
	v_cmp_gt_u64_e64 s[2:3], s[10:11], v[6:7]
	v_lshrrev_b32_e32 v32, 4, v0
	s_or_b64 s[6:7], vcc, s[2:3]
	v_mov_b32_e32 v8, 0
	v_mov_b32_e32 v10, 0
	;; [unrolled: 1-line block ×3, first 2 shown]
	s_and_saveexec_b64 s[2:3], s[6:7]
	s_cbranch_execz .LBB0_4
; %bb.3:
	v_mul_lo_u32 v1, s4, v32
	v_add3_u32 v10, v2, v4, v1
	v_mov_b32_e32 v11, 0
	v_lshl_add_u64 v[10:11], v[10:11], 3, s[8:9]
	global_load_dwordx2 v[10:11], v[10:11], off
.LBB0_4:
	s_or_b64 exec, exec, s[2:3]
	v_add_u32_e32 v7, 48, v32
	v_mov_b32_e32 v9, 0
	s_and_saveexec_b64 s[2:3], s[6:7]
	s_cbranch_execz .LBB0_6
; %bb.5:
	v_mul_lo_u32 v1, s4, v7
	v_add3_u32 v8, v2, v4, v1
	v_mov_b32_e32 v9, 0
	v_lshl_add_u64 v[8:9], v[8:9], 3, s[8:9]
	global_load_dwordx2 v[8:9], v[8:9], off
.LBB0_6:
	s_or_b64 exec, exec, s[2:3]
	v_mov_b32_e32 v12, 0
	v_mov_b32_e32 v14, 0
	;; [unrolled: 1-line block ×3, first 2 shown]
	s_and_saveexec_b64 s[2:3], s[6:7]
	s_cbranch_execz .LBB0_8
; %bb.7:
	v_add_u32_e32 v1, 0x60, v32
	v_mul_lo_u32 v1, s4, v1
	v_add3_u32 v14, v2, v4, v1
	v_mov_b32_e32 v15, 0
	v_lshl_add_u64 v[14:15], v[14:15], 3, s[8:9]
	global_load_dwordx2 v[14:15], v[14:15], off
.LBB0_8:
	s_or_b64 exec, exec, s[2:3]
	v_mov_b32_e32 v13, 0
	s_and_saveexec_b64 s[2:3], s[6:7]
	s_cbranch_execz .LBB0_10
; %bb.9:
	v_add_u32_e32 v1, 0x90, v32
	v_mul_lo_u32 v1, s4, v1
	v_add3_u32 v12, v2, v4, v1
	v_mov_b32_e32 v13, 0
	v_lshl_add_u64 v[12:13], v[12:13], 3, s[8:9]
	global_load_dwordx2 v[12:13], v[12:13], off
.LBB0_10:
	s_or_b64 exec, exec, s[2:3]
	v_add_u32_e32 v1, 16, v32
	v_mov_b32_e32 v16, 0
	v_mov_b32_e32 v18, 0
	;; [unrolled: 1-line block ×3, first 2 shown]
	s_and_saveexec_b64 s[2:3], s[6:7]
	s_cbranch_execz .LBB0_12
; %bb.11:
	v_mul_lo_u32 v3, s4, v1
	v_add3_u32 v18, v2, v4, v3
	v_mov_b32_e32 v19, 0
	v_lshl_add_u64 v[18:19], v[18:19], 3, s[8:9]
	global_load_dwordx2 v[18:19], v[18:19], off
.LBB0_12:
	s_or_b64 exec, exec, s[2:3]
	v_mov_b32_e32 v17, 0
	s_and_saveexec_b64 s[2:3], s[6:7]
	s_cbranch_execz .LBB0_14
; %bb.13:
	v_or_b32_e32 v3, 64, v32
	v_mul_lo_u32 v3, s4, v3
	v_add3_u32 v16, v2, v4, v3
	v_mov_b32_e32 v17, 0
	v_lshl_add_u64 v[16:17], v[16:17], 3, s[8:9]
	global_load_dwordx2 v[16:17], v[16:17], off
.LBB0_14:
	s_or_b64 exec, exec, s[2:3]
	v_mov_b32_e32 v20, 0
	v_mov_b32_e32 v22, 0
	;; [unrolled: 1-line block ×3, first 2 shown]
	s_and_saveexec_b64 s[2:3], s[6:7]
	s_cbranch_execz .LBB0_16
; %bb.15:
	v_add_u32_e32 v3, 0x70, v32
	v_mul_lo_u32 v3, s4, v3
	v_add3_u32 v22, v2, v4, v3
	v_mov_b32_e32 v23, 0
	v_lshl_add_u64 v[22:23], v[22:23], 3, s[8:9]
	global_load_dwordx2 v[22:23], v[22:23], off
.LBB0_16:
	s_or_b64 exec, exec, s[2:3]
	v_mov_b32_e32 v21, 0
	s_and_saveexec_b64 s[2:3], s[6:7]
	s_cbranch_execz .LBB0_18
; %bb.17:
	v_add_u32_e32 v3, 0xa0, v32
	v_mul_lo_u32 v3, s4, v3
	v_add3_u32 v20, v2, v4, v3
	v_mov_b32_e32 v21, 0
	v_lshl_add_u64 v[20:21], v[20:21], 3, s[8:9]
	global_load_dwordx2 v[20:21], v[20:21], off
.LBB0_18:
	s_or_b64 exec, exec, s[2:3]
	v_add_u32_e32 v3, 32, v32
	v_mov_b32_e32 v24, 0
	v_mov_b32_e32 v26, 0
	;; [unrolled: 1-line block ×3, first 2 shown]
	s_and_saveexec_b64 s[2:3], s[6:7]
	s_cbranch_execz .LBB0_20
; %bb.19:
	v_mul_lo_u32 v5, s4, v3
	v_add3_u32 v26, v2, v4, v5
	v_mov_b32_e32 v27, 0
	v_lshl_add_u64 v[26:27], v[26:27], 3, s[8:9]
	global_load_dwordx2 v[26:27], v[26:27], off
.LBB0_20:
	s_or_b64 exec, exec, s[2:3]
	v_mov_b32_e32 v25, 0
	s_and_saveexec_b64 s[2:3], s[6:7]
	s_cbranch_execz .LBB0_22
; %bb.21:
	v_add_u32_e32 v5, 0x50, v32
	v_mul_lo_u32 v5, s4, v5
	v_add3_u32 v24, v2, v4, v5
	v_mov_b32_e32 v25, 0
	v_lshl_add_u64 v[24:25], v[24:25], 3, s[8:9]
	global_load_dwordx2 v[24:25], v[24:25], off
.LBB0_22:
	s_or_b64 exec, exec, s[2:3]
	s_load_dwordx2 s[2:3], s[0:1], 0x0
	v_mov_b32_e32 v28, 0
	v_mov_b32_e32 v30, 0
	;; [unrolled: 1-line block ×3, first 2 shown]
	s_and_saveexec_b64 s[10:11], s[6:7]
	s_cbranch_execz .LBB0_24
; %bb.23:
	v_or_b32_e32 v5, 0x80, v32
	v_mul_lo_u32 v5, s4, v5
	v_add3_u32 v30, v2, v4, v5
	v_mov_b32_e32 v31, 0
	v_lshl_add_u64 v[30:31], v[30:31], 3, s[8:9]
	global_load_dwordx2 v[30:31], v[30:31], off
.LBB0_24:
	s_or_b64 exec, exec, s[10:11]
	v_mov_b32_e32 v29, 0
	s_and_saveexec_b64 s[10:11], s[6:7]
	s_cbranch_execz .LBB0_26
; %bb.25:
	v_add_u32_e32 v5, 0xb0, v32
	v_mul_lo_u32 v5, s4, v5
	v_add3_u32 v28, v2, v4, v5
	v_mov_b32_e32 v29, 0
	v_lshl_add_u64 v[28:29], v[28:29], 3, s[8:9]
	global_load_dwordx2 v[28:29], v[28:29], off
.LBB0_26:
	s_or_b64 exec, exec, s[10:11]
	s_waitcnt vmcnt(0)
	v_pk_add_f32 v[14:15], v[10:11], v[14:15] neg_lo:[0,1] neg_hi:[0,1]
	v_lshlrev_b32_e32 v33, 2, v33
	v_fma_f32 v5, v10, 2.0, -v14
	v_fma_f32 v34, v11, 2.0, -v15
	v_pk_add_f32 v[10:11], v[8:9], v[12:13] neg_lo:[0,1] neg_hi:[0,1]
	s_movk_i32 s5, 0xff40
	v_fma_f32 v8, v8, 2.0, -v10
	v_fma_f32 v9, v9, 2.0, -v11
	v_sub_f32_e32 v12, v5, v8
	v_sub_f32_e32 v35, v34, v9
	;; [unrolled: 1-line block ×3, first 2 shown]
	v_add_f32_e32 v36, v15, v10
	v_pk_add_f32 v[8:9], v[18:19], v[22:23] neg_lo:[0,1] neg_hi:[0,1]
	v_pk_add_f32 v[10:11], v[16:17], v[20:21] neg_lo:[0,1] neg_hi:[0,1]
	v_fma_f32 v37, v15, 2.0, -v36
	v_fma_f32 v15, v18, 2.0, -v8
	;; [unrolled: 1-line block ×4, first 2 shown]
	v_sub_f32_e32 v19, v18, v17
	v_sub_f32_e32 v17, v8, v11
	v_add_f32_e32 v39, v9, v10
	v_fma_f32 v16, v16, 2.0, -v10
	v_fma_f32 v38, v18, 2.0, -v19
	;; [unrolled: 1-line block ×4, first 2 shown]
	v_pk_add_f32 v[8:9], v[26:27], v[30:31] neg_lo:[0,1] neg_hi:[0,1]
	v_pk_add_f32 v[10:11], v[24:25], v[28:29] neg_lo:[0,1] neg_hi:[0,1]
	v_fma_f32 v21, v27, 2.0, -v9
	v_fma_f32 v23, v25, 2.0, -v11
	;; [unrolled: 1-line block ×3, first 2 shown]
	v_sub_f32_e32 v24, v21, v23
	v_fma_f32 v25, v21, 2.0, -v24
	v_lshlrev_b32_e32 v21, 8, v32
	v_fma_f32 v5, v5, 2.0, -v12
	v_fma_f32 v14, v14, 2.0, -v13
	;; [unrolled: 1-line block ×3, first 2 shown]
	v_add3_u32 v26, 0, v21, v33
	ds_write2_b32 v26, v5, v14 offset1:16
	ds_write2_b32 v26, v12, v13 offset0:32 offset1:48
	v_lshlrev_b32_e32 v5, 8, v1
	v_sub_f32_e32 v16, v15, v16
	v_sub_f32_e32 v22, v20, v22
	;; [unrolled: 1-line block ×3, first 2 shown]
	v_add3_u32 v27, 0, v5, v33
	v_lshlrev_b32_e32 v5, 8, v3
	v_fma_f32 v15, v15, 2.0, -v16
	v_fma_f32 v20, v20, 2.0, -v22
	;; [unrolled: 1-line block ×3, first 2 shown]
	v_add3_u32 v28, 0, v5, v33
	v_fma_f32 v34, v34, 2.0, -v35
	v_add_f32_e32 v10, v9, v10
	ds_write2_b32 v27, v15, v18 offset1:16
	ds_write2_b32 v27, v16, v17 offset0:32 offset1:48
	ds_write2_b32 v28, v20, v8 offset1:16
	ds_write2_b32 v28, v22, v11 offset0:32 offset1:48
	v_mad_i32_i24 v5, v32, s5, v26
	v_lshlrev_b32_e32 v8, 6, v7
	v_mad_i32_i24 v17, v1, s5, v27
	v_fma_f32 v9, v9, 2.0, -v10
	s_waitcnt lgkmcnt(0)
	s_barrier
	ds_read2st64_b32 v[12:13], v5 offset1:16
	v_add3_u32 v16, 0, v8, v33
	ds_read2st64_b32 v[14:15], v5 offset0:20 offset1:24
	ds_read2st64_b32 v[20:21], v5 offset0:36 offset1:40
	;; [unrolled: 1-line block ×3, first 2 shown]
	v_mad_i32_i24 v18, v3, s5, v28
	ds_read_b32 v41, v17
	ds_read_b32 v42, v18
	ds_read_b32 v43, v16
	ds_read_b32 v44, v5 offset:11264
	s_waitcnt lgkmcnt(0)
	s_barrier
	ds_write2_b32 v26, v34, v37 offset1:16
	ds_write2_b32 v26, v35, v36 offset0:32 offset1:48
	ds_write2_b32 v27, v38, v40 offset1:16
	ds_write2_b32 v27, v19, v39 offset0:32 offset1:48
	;; [unrolled: 2-line block ×3, first 2 shown]
	v_bfe_u32 v19, v0, 4, 2
	v_mul_u32_u24_e32 v8, 3, v19
	v_lshlrev_b32_e32 v26, 3, v8
	s_waitcnt lgkmcnt(0)
	s_barrier
	global_load_dwordx4 v[8:11], v26, s[2:3]
	global_load_dwordx2 v[24:25], v26, s[2:3] offset:16
	ds_read2st64_b32 v[26:27], v5 offset1:16
	ds_read2st64_b32 v[28:29], v5 offset0:20 offset1:24
	ds_read2st64_b32 v[30:31], v5 offset0:36 offset1:40
	ds_read_b32 v36, v16
	ds_read2st64_b32 v[34:35], v5 offset0:28 offset1:32
	ds_read_b32 v37, v17
	ds_read_b32 v38, v18
	ds_read_b32 v39, v5 offset:11264
	s_movk_i32 s5, 0xf0
	s_waitcnt lgkmcnt(0)
	s_barrier
	v_lshrrev_b32_e32 v7, 4, v7
	v_mul_u32_u24_e32 v7, 48, v7
	s_waitcnt vmcnt(1)
	v_mul_f32_e32 v40, v36, v9
	v_fma_f32 v40, v43, v8, -v40
	v_mul_f32_e32 v43, v43, v9
	v_fmac_f32_e32 v43, v36, v8
	v_mul_f32_e32 v36, v29, v11
	v_fma_f32 v36, v15, v10, -v36
	v_mul_f32_e32 v15, v15, v11
	v_fmac_f32_e32 v15, v29, v10
	s_waitcnt vmcnt(0)
	v_mul_f32_e32 v29, v30, v25
	v_fma_f32 v29, v20, v24, -v29
	v_mul_f32_e32 v20, v20, v25
	v_fmac_f32_e32 v20, v30, v24
	v_mul_f32_e32 v30, v27, v9
	v_fma_f32 v30, v13, v8, -v30
	v_mul_f32_e32 v13, v13, v9
	v_fmac_f32_e32 v13, v27, v8
	;; [unrolled: 4-line block ×4, first 2 shown]
	v_mul_f32_e32 v31, v28, v9
	v_mul_f32_e32 v9, v14, v9
	v_fma_f32 v31, v14, v8, -v31
	v_fmac_f32_e32 v9, v28, v8
	v_mul_f32_e32 v8, v35, v11
	v_mul_f32_e32 v11, v23, v11
	v_fmac_f32_e32 v11, v35, v10
	v_sub_f32_e32 v22, v37, v22
	v_sub_f32_e32 v11, v38, v11
	v_fma_f32 v8, v23, v10, -v8
	v_mul_f32_e32 v10, v39, v25
	v_mul_f32_e32 v14, v44, v25
	v_sub_f32_e32 v23, v12, v36
	v_sub_f32_e32 v15, v26, v15
	;; [unrolled: 1-line block ×3, first 2 shown]
	v_fma_f32 v35, v37, 2.0, -v22
	v_fma_f32 v37, v38, 2.0, -v11
	v_lshlrev_b32_e32 v38, 2, v32
	v_fma_f32 v10, v44, v24, -v10
	v_fmac_f32_e32 v14, v39, v24
	v_fma_f32 v12, v12, 2.0, -v23
	v_fma_f32 v24, v26, 2.0, -v15
	v_sub_f32_e32 v20, v43, v20
	v_fma_f32 v26, v40, 2.0, -v25
	v_and_or_b32 v38, v38, s5, v19
	v_fma_f32 v28, v43, 2.0, -v20
	v_sub_f32_e32 v26, v12, v26
	v_sub_f32_e32 v20, v23, v20
	v_lshlrev_b32_e32 v38, 6, v38
	v_fma_f32 v12, v12, 2.0, -v26
	v_fma_f32 v23, v23, 2.0, -v20
	v_add3_u32 v38, 0, v38, v33
	v_add_f32_e32 v25, v15, v25
	ds_write2st64_b32 v38, v12, v23 offset1:1
	ds_write2st64_b32 v38, v26, v20 offset0:2 offset1:3
	v_lshlrev_b32_e32 v12, 2, v1
	s_movk_i32 s5, 0x1f0
	v_fma_f32 v29, v15, 2.0, -v25
	v_sub_f32_e32 v15, v41, v27
	v_sub_f32_e32 v34, v30, v34
	;; [unrolled: 1-line block ×3, first 2 shown]
	v_and_or_b32 v12, v12, s5, v19
	v_fma_f32 v27, v41, 2.0, -v15
	v_fma_f32 v30, v30, 2.0, -v34
	;; [unrolled: 1-line block ×3, first 2 shown]
	v_lshlrev_b32_e32 v12, 6, v12
	v_sub_f32_e32 v30, v27, v30
	v_sub_f32_e32 v36, v35, v13
	v_add_f32_e32 v34, v22, v34
	v_sub_f32_e32 v8, v42, v8
	v_sub_f32_e32 v10, v31, v10
	v_add3_u32 v26, 0, v12, v33
	v_lshlrev_b32_e32 v12, 2, v3
	v_fma_f32 v13, v27, 2.0, -v30
	v_fma_f32 v27, v35, 2.0, -v36
	;; [unrolled: 1-line block ×4, first 2 shown]
	v_sub_f32_e32 v14, v9, v14
	v_fma_f32 v31, v31, 2.0, -v10
	v_and_or_b32 v12, v12, s5, v19
	v_sub_f32_e32 v28, v24, v28
	v_sub_f32_e32 v21, v15, v21
	v_fma_f32 v9, v9, 2.0, -v14
	v_sub_f32_e32 v31, v22, v31
	v_sub_f32_e32 v14, v8, v14
	v_lshlrev_b32_e32 v12, 6, v12
	v_fma_f32 v24, v24, 2.0, -v28
	v_fma_f32 v15, v15, 2.0, -v21
	v_sub_f32_e32 v9, v37, v9
	v_fma_f32 v22, v22, 2.0, -v31
	v_add_f32_e32 v10, v11, v10
	v_fma_f32 v8, v8, 2.0, -v14
	v_add3_u32 v19, 0, v12, v33
	v_fma_f32 v37, v37, 2.0, -v9
	v_fma_f32 v11, v11, 2.0, -v10
	ds_write2st64_b32 v26, v13, v15 offset1:1
	ds_write2st64_b32 v26, v30, v21 offset0:2 offset1:3
	ds_write2st64_b32 v19, v22, v8 offset1:1
	ds_write2st64_b32 v19, v31, v14 offset0:2 offset1:3
	s_waitcnt lgkmcnt(0)
	s_barrier
	ds_read2st64_b32 v[12:13], v5 offset1:16
	ds_read2st64_b32 v[14:15], v5 offset0:28 offset1:32
	ds_read2st64_b32 v[20:21], v5 offset0:20 offset1:24
	ds_read2st64_b32 v[22:23], v5 offset0:36 offset1:40
	ds_read_b32 v39, v18
	ds_read_b32 v40, v17
	;; [unrolled: 1-line block ×3, first 2 shown]
	ds_read_b32 v42, v5 offset:11264
	s_waitcnt lgkmcnt(0)
	s_barrier
	ds_write2st64_b32 v38, v24, v29 offset1:1
	ds_write2st64_b32 v38, v28, v25 offset0:2 offset1:3
	ds_write2st64_b32 v26, v27, v35 offset1:1
	ds_write2st64_b32 v26, v36, v34 offset0:2 offset1:3
	;; [unrolled: 2-line block ×3, first 2 shown]
	v_bfe_u32 v19, v0, 4, 4
	v_lshlrev_b32_e32 v8, 4, v19
	s_waitcnt lgkmcnt(0)
	s_barrier
	global_load_dwordx4 v[8:11], v8, s[2:3] offset:96
	ds_read2st64_b32 v[24:25], v5 offset1:16
	ds_read2st64_b32 v[26:27], v5 offset0:28 offset1:32
	ds_read2st64_b32 v[28:29], v5 offset0:20 offset1:24
	;; [unrolled: 1-line block ×3, first 2 shown]
	ds_read_b32 v34, v18
	ds_read_b32 v35, v17
	;; [unrolled: 1-line block ×3, first 2 shown]
	ds_read_b32 v37, v5 offset:11264
	s_waitcnt lgkmcnt(0)
	s_barrier
	v_or_b32_e32 v7, v7, v19
	v_lshlrev_b32_e32 v7, 6, v7
	s_waitcnt vmcnt(0)
	v_mul_f32_e32 v38, v25, v9
	v_fma_f32 v38, v13, v8, -v38
	v_mul_f32_e32 v13, v13, v9
	v_fmac_f32_e32 v13, v25, v8
	v_mul_f32_e32 v25, v27, v11
	v_fma_f32 v25, v15, v10, -v25
	v_mul_f32_e32 v15, v15, v11
	v_fmac_f32_e32 v15, v27, v10
	;; [unrolled: 4-line block ×6, first 2 shown]
	v_mul_f32_e32 v31, v26, v9
	v_mul_f32_e32 v9, v14, v9
	v_fma_f32 v31, v14, v8, -v31
	v_fmac_f32_e32 v9, v26, v8
	v_mul_f32_e32 v8, v37, v11
	v_mul_f32_e32 v11, v42, v11
	v_add_f32_e32 v14, v38, v25
	v_fma_f32 v8, v42, v10, -v8
	v_fmac_f32_e32 v11, v37, v10
	v_add_f32_e32 v10, v12, v38
	v_fmac_f32_e32 v12, -0.5, v14
	v_sub_f32_e32 v14, v13, v15
	v_fmamk_f32 v26, v14, 0x3f5db3d7, v12
	v_fmac_f32_e32 v12, 0xbf5db3d7, v14
	v_add_f32_e32 v14, v24, v13
	v_add_f32_e32 v13, v13, v15
	;; [unrolled: 1-line block ×3, first 2 shown]
	v_fmac_f32_e32 v24, -0.5, v13
	v_sub_f32_e32 v13, v38, v25
	v_add_f32_e32 v14, v27, v28
	v_add_f32_e32 v10, v10, v25
	v_fmamk_f32 v25, v13, 0xbf5db3d7, v24
	v_fmac_f32_e32 v24, 0x3f5db3d7, v13
	v_add_f32_e32 v13, v40, v27
	v_fmac_f32_e32 v40, -0.5, v14
	v_sub_f32_e32 v14, v20, v22
	v_fmamk_f32 v15, v14, 0x3f5db3d7, v40
	v_fmac_f32_e32 v40, 0xbf5db3d7, v14
	v_add_f32_e32 v14, v35, v20
	v_add_f32_e32 v38, v14, v22
	;; [unrolled: 1-line block ×3, first 2 shown]
	v_fmac_f32_e32 v35, -0.5, v14
	v_sub_f32_e32 v14, v27, v28
	v_add_f32_e32 v20, v30, v29
	v_fmamk_f32 v27, v14, 0xbf5db3d7, v35
	v_fmac_f32_e32 v35, 0x3f5db3d7, v14
	v_add_f32_e32 v14, v39, v30
	v_fmac_f32_e32 v39, -0.5, v20
	v_sub_f32_e32 v20, v21, v23
	v_fmamk_f32 v22, v20, 0x3f5db3d7, v39
	v_fmac_f32_e32 v39, 0xbf5db3d7, v20
	v_add_f32_e32 v20, v34, v21
	v_add_f32_e32 v42, v20, v23
	;; [unrolled: 1-line block ×3, first 2 shown]
	v_fmac_f32_e32 v34, -0.5, v20
	v_sub_f32_e32 v20, v30, v29
	v_add_f32_e32 v21, v31, v8
	v_fmamk_f32 v23, v20, 0xbf5db3d7, v34
	v_fmac_f32_e32 v34, 0x3f5db3d7, v20
	v_add_f32_e32 v20, v41, v31
	v_fmac_f32_e32 v41, -0.5, v21
	v_sub_f32_e32 v21, v9, v11
	v_add_f32_e32 v13, v13, v28
	v_fmamk_f32 v28, v21, 0x3f5db3d7, v41
	v_fmac_f32_e32 v41, 0xbf5db3d7, v21
	v_add_f32_e32 v21, v36, v9
	v_add_f32_e32 v9, v9, v11
	;; [unrolled: 1-line block ×3, first 2 shown]
	v_fmac_f32_e32 v36, -0.5, v9
	v_sub_f32_e32 v8, v31, v8
	v_fmamk_f32 v9, v8, 0xbf5db3d7, v36
	v_fmac_f32_e32 v36, 0x3f5db3d7, v8
	v_lshrrev_b32_e32 v8, 8, v0
	v_mul_u32_u24_e32 v8, 48, v8
	v_or_b32_e32 v8, v8, v19
	v_lshlrev_b32_e32 v8, 6, v8
	v_add3_u32 v8, 0, v8, v33
	ds_write2st64_b32 v8, v10, v26 offset1:4
	ds_write_b32 v8, v12 offset:2048
	v_lshrrev_b32_e32 v10, 4, v1
	v_mul_u32_u24_e32 v10, 48, v10
	v_or_b32_e32 v10, v10, v19
	v_lshlrev_b32_e32 v10, 6, v10
	v_add3_u32 v26, 0, v10, v33
	v_lshrrev_b32_e32 v10, 4, v3
	v_mul_u32_u24_e32 v10, 48, v10
	v_or_b32_e32 v10, v10, v19
	v_lshlrev_b32_e32 v10, 6, v10
	v_add_f32_e32 v14, v14, v29
	v_add3_u32 v30, 0, v10, v33
	v_add3_u32 v31, 0, v7, v33
	v_add_f32_e32 v29, v21, v11
	ds_write2st64_b32 v26, v13, v15 offset1:4
	ds_write_b32 v26, v40 offset:2048
	ds_write2st64_b32 v30, v14, v22 offset1:4
	ds_write_b32 v30, v39 offset:2048
	;; [unrolled: 2-line block ×3, first 2 shown]
	s_waitcnt lgkmcnt(0)
	s_barrier
	ds_read2st64_b32 v[10:11], v5 offset1:16
	ds_read2st64_b32 v[14:15], v5 offset0:20 offset1:24
	ds_read2st64_b32 v[12:13], v5 offset0:36 offset1:40
	ds_read2st64_b32 v[20:21], v5 offset0:28 offset1:32
	ds_read_b32 v28, v17
	ds_read_b32 v19, v18
	;; [unrolled: 1-line block ×3, first 2 shown]
	ds_read_b32 v22, v5 offset:11264
	s_waitcnt lgkmcnt(0)
	s_barrier
	ds_write2st64_b32 v8, v37, v25 offset1:4
	ds_write_b32 v8, v24 offset:2048
	ds_write2st64_b32 v26, v38, v27 offset1:4
	ds_write_b32 v26, v35 offset:2048
	;; [unrolled: 2-line block ×4, first 2 shown]
	s_waitcnt lgkmcnt(0)
	s_barrier
	s_and_saveexec_b64 s[10:11], s[6:7]
	s_cbranch_execz .LBB0_28
; %bb.27:
	s_movk_i32 s5, 0x100
	v_add_u32_e32 v8, -16, v32
	v_cmp_gt_u32_e32 vcc, s5, v0
	v_mov_b32_e32 v9, 0
	s_load_dwordx2 s[0:1], s[0:1], 0x8
	v_cndmask_b32_e32 v23, v8, v3, vcc
	v_mul_i32_i24_e32 v8, 3, v23
	v_lshl_add_u64 v[24:25], v[8:9], 3, s[2:3]
	global_load_dwordx4 v[34:37], v[24:25], off offset:352
	v_add_u32_e32 v8, 0x90, v23
	v_mul_lo_u32 v8, v6, v8
	v_mov_b32_e32 v56, 3
	v_lshlrev_b32_sdwa v29, v56, v8 dst_sel:DWORD dst_unused:UNUSED_PAD src0_sel:DWORD src1_sel:BYTE_0
	v_add_u32_e32 v26, 0x60, v23
	v_lshlrev_b32_sdwa v8, v56, v8 dst_sel:DWORD dst_unused:UNUSED_PAD src0_sel:DWORD src1_sel:BYTE_1
	v_mul_lo_u32 v33, v6, v26
	s_waitcnt lgkmcnt(0)
	global_load_dwordx2 v[26:27], v29, s[0:1]
	global_load_dwordx2 v[30:31], v8, s[0:1] offset:2048
	v_lshlrev_b32_sdwa v8, v56, v33 dst_sel:DWORD dst_unused:UNUSED_PAD src0_sel:DWORD src1_sel:BYTE_0
	v_lshlrev_b32_sdwa v29, v56, v33 dst_sel:DWORD dst_unused:UNUSED_PAD src0_sel:DWORD src1_sel:BYTE_1
	global_load_dwordx2 v[38:39], v8, s[0:1]
	global_load_dwordx2 v[40:41], v29, s[0:1] offset:2048
	global_load_dwordx2 v[42:43], v[24:25], off offset:368
	v_add_u32_e32 v8, 48, v23
	v_mul_lo_u32 v8, v6, v8
	v_lshlrev_b32_sdwa v24, v56, v8 dst_sel:DWORD dst_unused:UNUSED_PAD src0_sel:DWORD src1_sel:BYTE_0
	v_lshlrev_b32_sdwa v8, v56, v8 dst_sel:DWORD dst_unused:UNUSED_PAD src0_sel:DWORD src1_sel:BYTE_1
	global_load_dwordx2 v[44:45], v24, s[0:1]
	global_load_dwordx2 v[46:47], v8, s[0:1] offset:2048
	s_movk_i32 s5, 0x200
	ds_read2st64_b32 v[48:49], v5 offset0:28 offset1:32
	ds_read2st64_b32 v[24:25], v5 offset0:20 offset1:24
	v_subrev_u32_e32 v8, 32, v32
	v_cmp_gt_u32_e32 vcc, s5, v0
	s_movk_i32 s5, 0x300
	v_add_u32_e32 v2, v2, v4
	v_cndmask_b32_e32 v29, v8, v1, vcc
	v_mul_lo_u32 v8, v6, v23
	v_lshlrev_b32_sdwa v23, v56, v8 dst_sel:DWORD dst_unused:UNUSED_PAD src0_sel:DWORD src1_sel:BYTE_0
	v_lshlrev_b32_sdwa v33, v56, v8 dst_sel:DWORD dst_unused:UNUSED_PAD src0_sel:DWORD src1_sel:BYTE_1
	global_load_dwordx2 v[50:51], v23, s[0:1]
	global_load_dwordx2 v[52:53], v33, s[0:1] offset:2048
	v_mul_i32_i24_e32 v8, 3, v29
	v_lshl_add_u64 v[54:55], v[8:9], 3, s[2:3]
	v_cmp_gt_u32_e32 vcc, s5, v0
	s_waitcnt vmcnt(9)
	v_mul_f32_e32 v23, v21, v37
	s_waitcnt lgkmcnt(0)
	v_mul_f32_e32 v33, v24, v35
	v_mul_f32_e32 v37, v49, v37
	;; [unrolled: 1-line block ×3, first 2 shown]
	v_fmac_f32_e32 v23, v49, v36
	v_fma_f32 v14, v14, v34, -v33
	v_fma_f32 v21, v21, v36, -v37
	v_fmac_f32_e32 v57, v24, v34
	global_load_dwordx4 v[34:37], v[54:55], off offset:352
	ds_read_b32 v33, v5 offset:11264
	s_waitcnt vmcnt(8)
	v_mul_f32_e32 v8, v27, v31
	v_mul_f32_e32 v24, v26, v31
	v_fma_f32 v8, v26, v30, -v8
	s_waitcnt vmcnt(6)
	v_mul_f32_e32 v26, v39, v41
	v_fmac_f32_e32 v24, v27, v30
	v_fma_f32 v31, v38, v40, -v26
	global_load_dwordx2 v[26:27], v[54:55], off offset:368
	ds_read_b32 v18, v18
	ds_read_b32 v49, v17
	;; [unrolled: 1-line block ×3, first 2 shown]
	s_waitcnt vmcnt(6) lgkmcnt(3)
	v_mul_f32_e32 v16, v33, v43
	v_mul_f32_e32 v17, v22, v43
	v_fma_f32 v16, v22, v42, -v16
	v_fmac_f32_e32 v17, v33, v42
	s_waitcnt lgkmcnt(2)
	v_sub_f32_e32 v23, v18, v23
	v_sub_f32_e32 v16, v14, v16
	;; [unrolled: 1-line block ×4, first 2 shown]
	v_mul_f32_e32 v30, v38, v41
	v_add_f32_e32 v33, v23, v16
	v_sub_f32_e32 v38, v21, v17
	v_fma_f32 v42, v18, 2.0, -v23
	v_fma_f32 v18, v57, 2.0, -v17
	;; [unrolled: 1-line block ×4, first 2 shown]
	v_fmac_f32_e32 v30, v39, v40
	v_mul_f32_e32 v17, v38, v24
	v_mul_f32_e32 v16, v33, v24
	v_sub_f32_e32 v24, v42, v18
	v_sub_f32_e32 v14, v43, v14
	v_fma_f32 v55, v23, 2.0, -v33
	v_fmac_f32_e32 v17, v33, v8
	v_fma_f32 v16, v38, v8, -v16
	v_mul_f32_e32 v19, v14, v30
	v_mul_f32_e32 v8, v24, v30
	v_add_u32_e32 v23, 0x90, v29
	v_fmac_f32_e32 v19, v24, v31
	v_fma_f32 v18, v14, v31, -v8
	v_fma_f32 v8, v21, 2.0, -v38
	s_waitcnt vmcnt(4)
	v_mul_f32_e32 v21, v44, v47
	v_mul_lo_u32 v23, v6, v23
	v_add_u32_e32 v31, 0x60, v29
	v_mul_f32_e32 v22, v45, v47
	v_fmac_f32_e32 v21, v45, v46
	v_lshlrev_b32_sdwa v30, v56, v23 dst_sel:DWORD dst_unused:UNUSED_PAD src0_sel:DWORD src1_sel:BYTE_0
	v_lshlrev_b32_sdwa v23, v56, v23 dst_sel:DWORD dst_unused:UNUSED_PAD src0_sel:DWORD src1_sel:BYTE_1
	v_mul_lo_u32 v31, v6, v31
	v_fma_f32 v22, v44, v46, -v22
	global_load_dwordx2 v[38:39], v30, s[0:1]
	global_load_dwordx2 v[40:41], v23, s[0:1] offset:2048
	v_mul_f32_e32 v23, v8, v21
	v_mul_f32_e32 v21, v55, v21
	v_lshlrev_b32_sdwa v33, v56, v31 dst_sel:DWORD dst_unused:UNUSED_PAD src0_sel:DWORD src1_sel:BYTE_0
	v_fmac_f32_e32 v23, v55, v22
	v_fma_f32 v22, v8, v22, -v21
	v_fma_f32 v8, v42, 2.0, -v24
	v_fma_f32 v14, v43, 2.0, -v14
	v_lshlrev_b32_sdwa v31, v56, v31 dst_sel:DWORD dst_unused:UNUSED_PAD src0_sel:DWORD src1_sel:BYTE_1
	global_load_dwordx2 v[42:43], v33, s[0:1]
	global_load_dwordx2 v[44:45], v31, s[0:1] offset:2048
	ds_read2st64_b32 v[46:47], v5 offset1:16
	s_waitcnt vmcnt(6)
	v_mul_f32_e32 v30, v50, v53
	v_mul_f32_e32 v21, v51, v53
	v_fmac_f32_e32 v30, v51, v52
	v_fma_f32 v24, v50, v52, -v21
	v_mul_f32_e32 v21, v14, v30
	v_fmac_f32_e32 v21, v8, v24
	v_mul_f32_e32 v50, v8, v30
	s_waitcnt vmcnt(5) lgkmcnt(0)
	v_mul_f32_e32 v8, v47, v35
	v_mul_f32_e32 v51, v20, v37
	v_fma_f32 v52, v11, v34, -v8
	v_mul_f32_e32 v8, v48, v37
	v_fmac_f32_e32 v51, v48, v36
	v_fma_f32 v48, v20, v36, -v8
	v_mul_f32_e32 v11, v11, v35
	v_subrev_u32_e32 v8, 48, v32
	v_fmac_f32_e32 v11, v47, v34
	v_cndmask_b32_e32 v47, v8, v32, vcc
	v_mul_i32_i24_e32 v8, 3, v47
	v_lshl_add_u64 v[34:35], v[8:9], 3, s[2:3]
	global_load_dwordx4 v[30:33], v[34:35], off offset:352
	ds_read2st64_b32 v[36:37], v5 offset0:36 offset1:40
	v_fma_f32 v20, v14, v24, -v50
	v_sub_f32_e32 v8, v49, v51
	v_sub_f32_e32 v48, v28, v48
	s_movk_i32 s2, 0xff
	s_waitcnt vmcnt(5) lgkmcnt(0)
	v_mul_f32_e32 v24, v37, v27
	v_fma_f32 v24, v13, v26, -v24
	v_mul_f32_e32 v13, v13, v27
	v_fmac_f32_e32 v13, v37, v26
	v_sub_f32_e32 v50, v52, v24
	v_sub_f32_e32 v13, v11, v13
	v_add_f32_e32 v51, v8, v50
	v_sub_f32_e32 v37, v48, v13
	v_fma_f32 v11, v11, 2.0, -v13
	v_mul_lo_u32 v13, v6, v29
	s_waitcnt vmcnt(3)
	v_mul_f32_e32 v14, v38, v41
	v_mul_f32_e32 v5, v39, v41
	v_fmac_f32_e32 v14, v39, v40
	v_fma_f32 v5, v38, v40, -v5
	v_mul_f32_e32 v27, v37, v14
	v_mul_f32_e32 v14, v51, v14
	v_fma_f32 v26, v37, v5, -v14
	v_add_u32_e32 v14, 48, v29
	v_mul_lo_u32 v14, v6, v14
	v_lshlrev_b32_sdwa v24, v56, v14 dst_sel:DWORD dst_unused:UNUSED_PAD src0_sel:DWORD src1_sel:BYTE_0
	v_lshlrev_b32_sdwa v14, v56, v14 dst_sel:DWORD dst_unused:UNUSED_PAD src0_sel:DWORD src1_sel:BYTE_1
	global_load_dwordx2 v[38:39], v24, s[0:1]
	global_load_dwordx2 v[40:41], v14, s[0:1] offset:2048
	v_lshlrev_b32_sdwa v29, v56, v13 dst_sel:DWORD dst_unused:UNUSED_PAD src0_sel:DWORD src1_sel:BYTE_0
	v_lshlrev_b32_sdwa v13, v56, v13 dst_sel:DWORD dst_unused:UNUSED_PAD src0_sel:DWORD src1_sel:BYTE_1
	v_fmac_f32_e32 v27, v51, v5
	s_waitcnt vmcnt(3)
	v_mul_f32_e32 v5, v43, v45
	v_fma_f32 v5, v42, v44, -v5
	v_mul_f32_e32 v42, v42, v45
	v_fmac_f32_e32 v42, v43, v44
	v_fma_f32 v37, v48, 2.0, -v37
	s_waitcnt vmcnt(2)
	v_mul_f32_e32 v53, v15, v33
	v_mul_f32_e32 v14, v25, v33
	v_fmac_f32_e32 v53, v25, v32
	v_fma_f32 v55, v15, v32, -v14
	global_load_dwordx2 v[14:15], v29, s[0:1]
	global_load_dwordx2 v[24:25], v13, s[0:1] offset:2048
	global_load_dwordx2 v[32:33], v[34:35], off offset:368
	v_fma_f32 v13, v49, 2.0, -v8
	v_fma_f32 v49, v28, 2.0, -v48
	;; [unrolled: 1-line block ×3, first 2 shown]
	v_sub_f32_e32 v11, v13, v11
	v_sub_f32_e32 v50, v49, v28
	v_mul_f32_e32 v28, v54, v31
	v_fma_f32 v52, v7, v30, -v28
	v_mul_f32_e32 v57, v7, v31
	v_mul_f32_e32 v7, v11, v42
	v_fma_f32 v28, v50, v5, -v7
	v_add_u32_e32 v7, 0x90, v47
	v_mul_lo_u32 v7, v6, v7
	v_mul_f32_e32 v29, v50, v42
	v_lshlrev_b32_sdwa v42, v56, v7 dst_sel:DWORD dst_unused:UNUSED_PAD src0_sel:DWORD src1_sel:BYTE_0
	v_lshlrev_b32_sdwa v7, v56, v7 dst_sel:DWORD dst_unused:UNUSED_PAD src0_sel:DWORD src1_sel:BYTE_1
	v_fmac_f32_e32 v57, v54, v30
	global_load_dwordx2 v[30:31], v42, s[0:1]
	global_load_dwordx2 v[34:35], v7, s[0:1] offset:2048
	v_fma_f32 v7, v8, 2.0, -v51
	v_fmac_f32_e32 v29, v11, v5
	v_mul_lo_u32 v5, v6, v47
	v_lshlrev_b32_sdwa v48, v56, v5 dst_sel:DWORD dst_unused:UNUSED_PAD src0_sel:DWORD src1_sel:BYTE_0
	v_lshlrev_b32_sdwa v5, v56, v5 dst_sel:DWORD dst_unused:UNUSED_PAD src0_sel:DWORD src1_sel:BYTE_1
	s_waitcnt vmcnt(5)
	v_mul_f32_e32 v8, v39, v41
	v_fma_f32 v8, v38, v40, -v8
	v_mul_f32_e32 v38, v38, v41
	v_fmac_f32_e32 v38, v39, v40
	v_mul_f32_e32 v39, v37, v38
	v_mul_f32_e32 v38, v7, v38
	v_fma_f32 v38, v37, v8, -v38
	v_add_u32_e32 v37, 0x60, v47
	v_mul_lo_u32 v37, v6, v37
	v_lshlrev_b32_sdwa v44, v56, v37 dst_sel:DWORD dst_unused:UNUSED_PAD src0_sel:DWORD src1_sel:BYTE_0
	v_fmac_f32_e32 v39, v7, v8
	v_lshlrev_b32_sdwa v37, v56, v37 dst_sel:DWORD dst_unused:UNUSED_PAD src0_sel:DWORD src1_sel:BYTE_1
	global_load_dwordx2 v[40:41], v44, s[0:1]
	global_load_dwordx2 v[42:43], v37, s[0:1] offset:2048
	s_waitcnt vmcnt(5)
	v_mul_f32_e32 v7, v15, v25
	v_fma_f32 v8, v14, v24, -v7
	v_add_u32_e32 v7, 48, v47
	v_mul_lo_u32 v7, v6, v7
	v_mul_f32_e32 v37, v14, v25
	v_lshlrev_b32_sdwa v44, v56, v7 dst_sel:DWORD dst_unused:UNUSED_PAD src0_sel:DWORD src1_sel:BYTE_0
	v_fmac_f32_e32 v37, v15, v24
	v_lshlrev_b32_sdwa v7, v56, v7 dst_sel:DWORD dst_unused:UNUSED_PAD src0_sel:DWORD src1_sel:BYTE_1
	global_load_dwordx2 v[14:15], v44, s[0:1]
	global_load_dwordx2 v[24:25], v7, s[0:1] offset:2048
	s_nop 0
	global_load_dwordx2 v[6:7], v48, s[0:1]
	global_load_dwordx2 v[44:45], v5, s[0:1] offset:2048
	v_fma_f32 v5, v13, 2.0, -v11
	v_fma_f32 v11, v49, 2.0, -v50
	v_mul_f32_e32 v49, v11, v37
	v_fmac_f32_e32 v49, v5, v8
	v_mul_f32_e32 v5, v5, v37
	v_fma_f32 v48, v11, v8, -v5
	s_waitcnt vmcnt(8)
	v_mul_f32_e32 v11, v36, v33
	s_movk_i32 s0, 0x2ff
	v_fma_f32 v11, v12, v32, -v11
	v_mul_f32_e32 v12, v12, v33
	v_mov_b32_e32 v5, 0xc0
	v_cmp_lt_u32_e32 vcc, s0, v0
	v_fmac_f32_e32 v12, v36, v32
	v_sub_f32_e32 v11, v52, v11
	v_cndmask_b32_e32 v5, 0, v5, vcc
	s_waitcnt vmcnt(6)
	v_mul_f32_e32 v13, v31, v35
	v_sub_f32_e32 v50, v10, v55
	v_sub_f32_e32 v32, v57, v12
	v_mul_f32_e32 v12, v30, v35
	v_or_b32_e32 v8, v47, v5
	v_sub_f32_e32 v5, v46, v53
	v_fma_f32 v47, v30, v34, -v13
	v_fmac_f32_e32 v12, v31, v34
	v_fma_f32 v34, v10, 2.0, -v50
	v_fma_f32 v10, v52, 2.0, -v11
	;; [unrolled: 1-line block ×4, first 2 shown]
	v_sub_f32_e32 v35, v34, v10
	v_sub_f32_e32 v33, v50, v32
	;; [unrolled: 1-line block ×3, first 2 shown]
	v_add_f32_e32 v37, v5, v11
	v_mul_f32_e32 v13, v33, v12
	v_mul_f32_e32 v12, v37, v12
	v_fma_f32 v12, v33, v47, -v12
	v_fma_f32 v33, v50, 2.0, -v33
	v_fma_f32 v5, v5, 2.0, -v37
	v_fmac_f32_e32 v13, v37, v47
	s_waitcnt vmcnt(4)
	v_mul_f32_e32 v10, v40, v43
	v_mul_f32_e32 v32, v41, v43
	v_fmac_f32_e32 v10, v41, v42
	v_fma_f32 v32, v40, v42, -v32
	v_mul_f32_e32 v11, v35, v10
	v_mul_f32_e32 v10, v31, v10
	v_fmac_f32_e32 v11, v31, v32
	v_fma_f32 v10, v35, v32, -v10
	s_waitcnt vmcnt(2)
	v_mul_f32_e32 v32, v15, v25
	v_fma_f32 v32, v14, v24, -v32
	v_mul_f32_e32 v14, v14, v25
	v_fmac_f32_e32 v14, v15, v24
	v_mul_f32_e32 v15, v33, v14
	s_waitcnt vmcnt(0)
	v_mul_f32_e32 v25, v7, v45
	v_fmac_f32_e32 v15, v5, v32
	v_mul_f32_e32 v5, v5, v14
	v_fma_f32 v25, v6, v44, -v25
	v_mul_f32_e32 v6, v6, v45
	v_fma_f32 v14, v33, v32, -v5
	v_mad_u64_u32 v[4:5], s[0:1], s4, v8, v[2:3]
	v_fma_f32 v24, v30, 2.0, -v31
	v_fma_f32 v30, v34, 2.0, -v35
	v_fmac_f32_e32 v6, v44, v7
	v_mov_b32_e32 v5, v9
	v_mul_f32_e32 v7, v30, v6
	v_mul_f32_e32 v6, v24, v6
	v_lshl_add_u64 v[4:5], v[4:5], 3, s[8:9]
	v_fmac_f32_e32 v7, v24, v25
	v_fma_f32 v6, v30, v25, -v6
	global_store_dwordx2 v[4:5], v[6:7], off
	v_add_u32_e32 v4, 48, v8
	v_mad_u64_u32 v[4:5], s[0:1], s4, v4, v[2:3]
	v_mov_b32_e32 v5, v9
	v_lshl_add_u64 v[4:5], v[4:5], 3, s[8:9]
	global_store_dwordx2 v[4:5], v[14:15], off
	v_add_u32_e32 v4, 0x60, v8
	v_mad_u64_u32 v[4:5], s[0:1], s4, v4, v[2:3]
	v_mov_b32_e32 v5, v9
	v_lshl_add_u64 v[4:5], v[4:5], 3, s[8:9]
	global_store_dwordx2 v[4:5], v[10:11], off
	v_add_u32_e32 v4, 0x90, v8
	v_mad_u64_u32 v[4:5], s[0:1], s4, v4, v[2:3]
	v_mov_b32_e32 v5, v9
	s_movk_i32 s0, 0x1ff
	v_lshl_add_u64 v[4:5], v[4:5], 3, s[8:9]
	v_mov_b32_e32 v6, 0x90
	v_cmp_lt_u32_e32 vcc, s0, v0
	global_store_dwordx2 v[4:5], v[12:13], off
	s_nop 0
	v_cndmask_b32_e32 v4, 0, v6, vcc
	v_add_u32_e32 v1, v4, v1
	v_mad_u64_u32 v[4:5], s[0:1], s4, v1, v[2:3]
	v_mov_b32_e32 v5, v9
	v_lshl_add_u64 v[4:5], v[4:5], 3, s[8:9]
	global_store_dwordx2 v[4:5], v[48:49], off
	v_add_u32_e32 v4, 48, v1
	v_mad_u64_u32 v[4:5], s[0:1], s4, v4, v[2:3]
	v_mov_b32_e32 v5, v9
	v_lshl_add_u64 v[4:5], v[4:5], 3, s[8:9]
	global_store_dwordx2 v[4:5], v[38:39], off
	v_add_u32_e32 v4, 0x60, v1
	v_mad_u64_u32 v[4:5], s[0:1], s4, v4, v[2:3]
	v_mov_b32_e32 v5, v9
	v_cmp_lt_u32_e32 vcc, s2, v0
	v_lshl_add_u64 v[4:5], v[4:5], 3, s[8:9]
	v_add_u32_e32 v1, 0x90, v1
	v_cndmask_b32_e32 v0, 0, v6, vcc
	global_store_dwordx2 v[4:5], v[28:29], off
	v_mad_u64_u32 v[4:5], s[0:1], s4, v1, v[2:3]
	v_add_u32_e32 v3, v0, v3
	v_mad_u64_u32 v[0:1], s[0:1], s4, v3, v[2:3]
	v_mov_b32_e32 v5, v9
	v_mov_b32_e32 v1, v9
	v_lshl_add_u64 v[4:5], v[4:5], 3, s[8:9]
	v_lshl_add_u64 v[0:1], v[0:1], 3, s[8:9]
	global_store_dwordx2 v[4:5], v[26:27], off
	global_store_dwordx2 v[0:1], v[20:21], off
	v_add_u32_e32 v0, 48, v3
	v_mad_u64_u32 v[0:1], s[0:1], s4, v0, v[2:3]
	v_mov_b32_e32 v1, v9
	v_lshl_add_u64 v[0:1], v[0:1], 3, s[8:9]
	global_store_dwordx2 v[0:1], v[22:23], off
	v_add_u32_e32 v0, 0x60, v3
	v_mad_u64_u32 v[0:1], s[0:1], s4, v0, v[2:3]
	v_mov_b32_e32 v1, v9
	v_lshl_add_u64 v[0:1], v[0:1], 3, s[8:9]
	;; [unrolled: 5-line block ×3, first 2 shown]
	global_store_dwordx2 v[0:1], v[16:17], off
.LBB0_28:
	s_endpgm
	.section	.rodata,"a",@progbits
	.p2align	6, 0x0
	.amdhsa_kernel fft_rtc_fwd_len192_factors_4_4_3_4_wgs_256_tpt_16_halfLds_dim2_sp_ip_CI_sbcc_twdbase8_2step_dirReg_intrinsicReadWrite
		.amdhsa_group_segment_fixed_size 0
		.amdhsa_private_segment_fixed_size 0
		.amdhsa_kernarg_size 88
		.amdhsa_user_sgpr_count 2
		.amdhsa_user_sgpr_dispatch_ptr 0
		.amdhsa_user_sgpr_queue_ptr 0
		.amdhsa_user_sgpr_kernarg_segment_ptr 1
		.amdhsa_user_sgpr_dispatch_id 0
		.amdhsa_user_sgpr_kernarg_preload_length 0
		.amdhsa_user_sgpr_kernarg_preload_offset 0
		.amdhsa_user_sgpr_private_segment_size 0
		.amdhsa_uses_dynamic_stack 0
		.amdhsa_enable_private_segment 0
		.amdhsa_system_sgpr_workgroup_id_x 1
		.amdhsa_system_sgpr_workgroup_id_y 0
		.amdhsa_system_sgpr_workgroup_id_z 0
		.amdhsa_system_sgpr_workgroup_info 0
		.amdhsa_system_vgpr_workitem_id 0
		.amdhsa_next_free_vgpr 58
		.amdhsa_next_free_sgpr 20
		.amdhsa_accum_offset 60
		.amdhsa_reserve_vcc 1
		.amdhsa_float_round_mode_32 0
		.amdhsa_float_round_mode_16_64 0
		.amdhsa_float_denorm_mode_32 3
		.amdhsa_float_denorm_mode_16_64 3
		.amdhsa_dx10_clamp 1
		.amdhsa_ieee_mode 1
		.amdhsa_fp16_overflow 0
		.amdhsa_tg_split 0
		.amdhsa_exception_fp_ieee_invalid_op 0
		.amdhsa_exception_fp_denorm_src 0
		.amdhsa_exception_fp_ieee_div_zero 0
		.amdhsa_exception_fp_ieee_overflow 0
		.amdhsa_exception_fp_ieee_underflow 0
		.amdhsa_exception_fp_ieee_inexact 0
		.amdhsa_exception_int_div_zero 0
	.end_amdhsa_kernel
	.text
.Lfunc_end0:
	.size	fft_rtc_fwd_len192_factors_4_4_3_4_wgs_256_tpt_16_halfLds_dim2_sp_ip_CI_sbcc_twdbase8_2step_dirReg_intrinsicReadWrite, .Lfunc_end0-fft_rtc_fwd_len192_factors_4_4_3_4_wgs_256_tpt_16_halfLds_dim2_sp_ip_CI_sbcc_twdbase8_2step_dirReg_intrinsicReadWrite
                                        ; -- End function
	.section	.AMDGPU.csdata,"",@progbits
; Kernel info:
; codeLenInByte = 5612
; NumSgprs: 26
; NumVgprs: 58
; NumAgprs: 0
; TotalNumVgprs: 58
; ScratchSize: 0
; MemoryBound: 0
; FloatMode: 240
; IeeeMode: 1
; LDSByteSize: 0 bytes/workgroup (compile time only)
; SGPRBlocks: 3
; VGPRBlocks: 7
; NumSGPRsForWavesPerEU: 26
; NumVGPRsForWavesPerEU: 58
; AccumOffset: 60
; Occupancy: 8
; WaveLimiterHint : 1
; COMPUTE_PGM_RSRC2:SCRATCH_EN: 0
; COMPUTE_PGM_RSRC2:USER_SGPR: 2
; COMPUTE_PGM_RSRC2:TRAP_HANDLER: 0
; COMPUTE_PGM_RSRC2:TGID_X_EN: 1
; COMPUTE_PGM_RSRC2:TGID_Y_EN: 0
; COMPUTE_PGM_RSRC2:TGID_Z_EN: 0
; COMPUTE_PGM_RSRC2:TIDIG_COMP_CNT: 0
; COMPUTE_PGM_RSRC3_GFX90A:ACCUM_OFFSET: 14
; COMPUTE_PGM_RSRC3_GFX90A:TG_SPLIT: 0
	.text
	.p2alignl 6, 3212836864
	.fill 256, 4, 3212836864
	.type	__hip_cuid_eb452db4a72df4b0,@object ; @__hip_cuid_eb452db4a72df4b0
	.section	.bss,"aw",@nobits
	.globl	__hip_cuid_eb452db4a72df4b0
__hip_cuid_eb452db4a72df4b0:
	.byte	0                               ; 0x0
	.size	__hip_cuid_eb452db4a72df4b0, 1

	.ident	"AMD clang version 19.0.0git (https://github.com/RadeonOpenCompute/llvm-project roc-6.4.0 25133 c7fe45cf4b819c5991fe208aaa96edf142730f1d)"
	.section	".note.GNU-stack","",@progbits
	.addrsig
	.addrsig_sym __hip_cuid_eb452db4a72df4b0
	.amdgpu_metadata
---
amdhsa.kernels:
  - .agpr_count:     0
    .args:
      - .actual_access:  read_only
        .address_space:  global
        .offset:         0
        .size:           8
        .value_kind:     global_buffer
      - .address_space:  global
        .offset:         8
        .size:           8
        .value_kind:     global_buffer
      - .actual_access:  read_only
        .address_space:  global
        .offset:         16
        .size:           8
        .value_kind:     global_buffer
      - .actual_access:  read_only
        .address_space:  global
        .offset:         24
        .size:           8
        .value_kind:     global_buffer
      - .offset:         32
        .size:           8
        .value_kind:     by_value
      - .actual_access:  read_only
        .address_space:  global
        .offset:         40
        .size:           8
        .value_kind:     global_buffer
      - .actual_access:  read_only
        .address_space:  global
        .offset:         48
        .size:           8
        .value_kind:     global_buffer
      - .offset:         56
        .size:           4
        .value_kind:     by_value
      - .actual_access:  read_only
        .address_space:  global
        .offset:         64
        .size:           8
        .value_kind:     global_buffer
      - .actual_access:  read_only
        .address_space:  global
        .offset:         72
        .size:           8
        .value_kind:     global_buffer
      - .address_space:  global
        .offset:         80
        .size:           8
        .value_kind:     global_buffer
    .group_segment_fixed_size: 0
    .kernarg_segment_align: 8
    .kernarg_segment_size: 88
    .language:       OpenCL C
    .language_version:
      - 2
      - 0
    .max_flat_workgroup_size: 256
    .name:           fft_rtc_fwd_len192_factors_4_4_3_4_wgs_256_tpt_16_halfLds_dim2_sp_ip_CI_sbcc_twdbase8_2step_dirReg_intrinsicReadWrite
    .private_segment_fixed_size: 0
    .sgpr_count:     26
    .sgpr_spill_count: 0
    .symbol:         fft_rtc_fwd_len192_factors_4_4_3_4_wgs_256_tpt_16_halfLds_dim2_sp_ip_CI_sbcc_twdbase8_2step_dirReg_intrinsicReadWrite.kd
    .uniform_work_group_size: 1
    .uses_dynamic_stack: false
    .vgpr_count:     58
    .vgpr_spill_count: 0
    .wavefront_size: 64
amdhsa.target:   amdgcn-amd-amdhsa--gfx950
amdhsa.version:
  - 1
  - 2
...

	.end_amdgpu_metadata
